;; amdgpu-corpus repo=ROCm/rocFFT kind=compiled arch=gfx950 opt=O3
	.text
	.amdgcn_target "amdgcn-amd-amdhsa--gfx950"
	.amdhsa_code_object_version 6
	.protected	bluestein_single_fwd_len648_dim1_sp_op_CI_CI ; -- Begin function bluestein_single_fwd_len648_dim1_sp_op_CI_CI
	.globl	bluestein_single_fwd_len648_dim1_sp_op_CI_CI
	.p2align	8
	.type	bluestein_single_fwd_len648_dim1_sp_op_CI_CI,@function
bluestein_single_fwd_len648_dim1_sp_op_CI_CI: ; @bluestein_single_fwd_len648_dim1_sp_op_CI_CI
; %bb.0:
	s_load_dwordx4 s[8:11], s[0:1], 0x28
	v_mul_u32_u24_e32 v1, 0x130, v0
	v_add_u32_sdwa v34, s2, v1 dst_sel:DWORD dst_unused:UNUSED_PAD src0_sel:DWORD src1_sel:WORD_1
	v_mov_b32_e32 v35, 0
	s_waitcnt lgkmcnt(0)
	v_cmp_gt_u64_e32 vcc, s[8:9], v[34:35]
	s_and_saveexec_b64 s[2:3], vcc
	s_cbranch_execz .LBB0_15
; %bb.1:
	s_load_dwordx2 s[8:9], s[0:1], 0x0
	s_load_dwordx2 s[12:13], s[0:1], 0x38
	s_movk_i32 s2, 0xd8
	v_mul_lo_u16_sdwa v1, v1, s2 dst_sel:DWORD dst_unused:UNUSED_PAD src0_sel:WORD_1 src1_sel:DWORD
	v_sub_u16_e32 v35, v0, v1
	s_movk_i32 s2, 0x51
	v_cmp_gt_u16_e64 s[2:3], s2, v35
	v_lshlrev_b32_e32 v32, 3, v35
	s_and_saveexec_b64 s[14:15], s[2:3]
	s_cbranch_execz .LBB0_3
; %bb.2:
	s_load_dwordx2 s[4:5], s[0:1], 0x18
	v_mov_b32_e32 v0, s10
	v_mov_b32_e32 v1, s11
	;; [unrolled: 1-line block ×3, first 2 shown]
	s_waitcnt lgkmcnt(0)
	s_load_dwordx4 s[4:7], s[4:5], 0x0
	s_waitcnt lgkmcnt(0)
	v_mad_u64_u32 v[2:3], s[10:11], s6, v34, 0
	v_mad_u64_u32 v[4:5], s[10:11], s4, v35, 0
	v_mov_b32_e32 v6, v3
	v_mov_b32_e32 v8, v5
	v_mad_u64_u32 v[6:7], s[6:7], s7, v34, v[6:7]
	v_mov_b32_e32 v3, v6
	v_mad_u64_u32 v[6:7], s[6:7], s5, v35, v[8:9]
	v_mov_b32_e32 v5, v6
	v_lshl_add_u64 v[0:1], v[2:3], 3, v[0:1]
	v_lshl_add_u64 v[0:1], v[4:5], 3, v[0:1]
	v_lshl_add_u64 v[4:5], s[8:9], 0, v[32:33]
	v_mov_b32_e32 v33, 0x288
	global_load_dwordx2 v[2:3], v[0:1], off
	v_mad_u64_u32 v[0:1], s[6:7], s4, v33, v[0:1]
	s_mul_i32 s10, s5, 0x288
	v_add_u32_e32 v1, s10, v1
	v_mad_u64_u32 v[6:7], s[6:7], s4, v33, v[0:1]
	v_add_u32_e32 v7, s10, v7
	v_mad_u64_u32 v[14:15], s[6:7], s4, v33, v[6:7]
	;; [unrolled: 2-line block ×3, first 2 shown]
	global_load_dwordx2 v[8:9], v32, s[8:9]
	global_load_dwordx2 v[10:11], v32, s[8:9] offset:648
	global_load_dwordx2 v[12:13], v32, s[8:9] offset:1296
	v_add_u32_e32 v17, s10, v17
	global_load_dwordx2 v[0:1], v[0:1], off
	s_nop 0
	global_load_dwordx2 v[18:19], v[6:7], off
	global_load_dwordx2 v[20:21], v[14:15], off
	;; [unrolled: 1-line block ×3, first 2 shown]
	v_mad_u64_u32 v[6:7], s[6:7], s4, v33, v[16:17]
	v_add_u32_e32 v7, s10, v7
	global_load_dwordx2 v[14:15], v32, s[8:9] offset:1944
	global_load_dwordx2 v[16:17], v[6:7], off
	v_mad_u64_u32 v[6:7], s[6:7], s4, v33, v[6:7]
	v_add_u32_e32 v7, s10, v7
	v_add_co_u32_e32 v4, vcc, 0x1000, v4
	global_load_dwordx2 v[24:25], v32, s[8:9] offset:2592
	global_load_dwordx2 v[26:27], v[6:7], off
	global_load_dwordx2 v[28:29], v32, s[8:9] offset:3240
	global_load_dwordx2 v[30:31], v32, s[8:9] offset:3888
	v_mad_u64_u32 v[6:7], s[4:5], s4, v33, v[6:7]
	v_addc_co_u32_e32 v5, vcc, 0, v5, vcc
	v_add_u32_e32 v7, s10, v7
	global_load_dwordx2 v[36:37], v[4:5], off offset:440
	global_load_dwordx2 v[38:39], v[6:7], off
	v_add_u32_e32 v6, 0x800, v32
	s_waitcnt vmcnt(14)
	v_mul_f32_e32 v4, v3, v9
	v_mul_f32_e32 v5, v2, v9
	v_fmac_f32_e32 v4, v2, v8
	v_fma_f32 v5, v3, v8, -v5
	s_waitcnt vmcnt(11)
	v_mul_f32_e32 v2, v1, v11
	v_mul_f32_e32 v3, v0, v11
	v_fmac_f32_e32 v2, v0, v10
	v_fma_f32 v3, v1, v10, -v3
	ds_write2_b64 v32, v[4:5], v[2:3] offset1:81
	s_waitcnt vmcnt(10)
	v_mul_f32_e32 v0, v19, v13
	v_mul_f32_e32 v1, v18, v13
	s_waitcnt vmcnt(7)
	v_mul_f32_e32 v2, v21, v15
	v_mul_f32_e32 v3, v20, v15
	v_fmac_f32_e32 v0, v18, v12
	v_fma_f32 v1, v19, v12, -v1
	v_fmac_f32_e32 v2, v20, v14
	v_fma_f32 v3, v21, v14, -v3
	ds_write2_b64 v32, v[0:1], v[2:3] offset0:162 offset1:243
	s_waitcnt vmcnt(5)
	v_mul_f32_e32 v0, v23, v25
	v_mul_f32_e32 v1, v22, v25
	s_waitcnt vmcnt(3)
	v_mul_f32_e32 v2, v17, v29
	v_mul_f32_e32 v3, v16, v29
	v_fmac_f32_e32 v0, v22, v24
	v_fma_f32 v1, v23, v24, -v1
	v_fmac_f32_e32 v2, v16, v28
	v_fma_f32 v3, v17, v28, -v3
	ds_write2_b64 v6, v[0:1], v[2:3] offset0:68 offset1:149
	s_waitcnt vmcnt(2)
	v_mul_f32_e32 v0, v27, v31
	v_mul_f32_e32 v1, v26, v31
	s_waitcnt vmcnt(0)
	v_mul_f32_e32 v2, v39, v37
	v_mul_f32_e32 v3, v38, v37
	v_fmac_f32_e32 v0, v26, v30
	v_fma_f32 v1, v27, v30, -v1
	v_fmac_f32_e32 v2, v38, v36
	v_fma_f32 v3, v39, v36, -v3
	v_add_u32_e32 v4, 0xc00, v32
	ds_write2_b64 v4, v[0:1], v[2:3] offset0:102 offset1:183
.LBB0_3:
	s_or_b64 exec, exec, s[14:15]
	s_load_dwordx2 s[4:5], s[0:1], 0x20
	s_load_dwordx2 s[10:11], s[0:1], 0x8
	s_waitcnt lgkmcnt(0)
	s_barrier
	s_waitcnt lgkmcnt(0)
                                        ; implicit-def: $vgpr6
                                        ; implicit-def: $vgpr17
                                        ; implicit-def: $vgpr4
                                        ; implicit-def: $vgpr14
                                        ; implicit-def: $vgpr2
                                        ; implicit-def: $vgpr10
	s_and_saveexec_b64 s[0:1], s[2:3]
	s_cbranch_execz .LBB0_5
; %bb.4:
	v_add_u32_e32 v0, 0xc00, v32
	ds_read2_b64 v[4:7], v0 offset0:102 offset1:183
	v_add_u32_e32 v0, 0x800, v32
	ds_read2_b64 v[12:15], v0 offset0:68 offset1:149
	ds_read2_b64 v[8:11], v32 offset1:81
	ds_read2_b64 v[0:3], v32 offset0:162 offset1:243
	s_waitcnt lgkmcnt(2)
	v_mov_b32_e32 v16, v12
	v_mov_b32_e32 v17, v4
	;; [unrolled: 1-line block ×4, first 2 shown]
.LBB0_5:
	s_or_b64 exec, exec, s[0:1]
	s_waitcnt lgkmcnt(1)
	v_mov_b32_e32 v12, v8
	s_waitcnt lgkmcnt(0)
	v_mov_b32_e32 v13, v0
	v_pk_add_f32 v[12:13], v[12:13], v[16:17] neg_lo:[0,1] neg_hi:[0,1]
	v_mov_b32_e32 v16, v1
	v_mov_b32_e32 v17, v9
	v_pk_add_f32 v[14:15], v[10:11], v[14:15] neg_lo:[0,1] neg_hi:[0,1]
	v_pk_add_f32 v[6:7], v[2:3], v[6:7] neg_lo:[0,1] neg_hi:[0,1]
	;; [unrolled: 1-line block ×3, first 2 shown]
	v_pk_add_f32 v[16:17], v[14:15], v[6:7] op_sel:[0,1] op_sel_hi:[1,0] neg_lo:[0,1] neg_hi:[0,1]
	v_pk_add_f32 v[18:19], v[14:15], v[6:7] op_sel:[0,1] op_sel_hi:[1,0]
	v_mov_b32_e32 v20, v13
	v_mov_b32_e32 v17, v19
	v_mov_b32_e32 v18, v12
	v_mov_b32_e32 v19, v5
	v_mov_b32_e32 v21, v4
	v_pk_fma_f32 v[8:9], v[8:9], 2.0, v[18:19] op_sel_hi:[1,0,1] neg_lo:[0,0,1] neg_hi:[0,0,1]
	v_pk_fma_f32 v[0:1], v[0:1], 2.0, v[20:21] op_sel_hi:[1,0,1] neg_lo:[0,0,1] neg_hi:[0,0,1]
	v_pk_add_f32 v[20:21], v[12:13], v[4:5] neg_lo:[0,1] neg_hi:[0,1]
	v_pk_add_f32 v[4:5], v[12:13], v[4:5]
	v_pk_fma_f32 v[10:11], v[10:11], 2.0, v[14:15] op_sel_hi:[1,0,1] neg_lo:[0,0,1] neg_hi:[0,0,1]
	v_pk_fma_f32 v[6:7], v[2:3], 2.0, v[6:7] op_sel_hi:[1,0,1] neg_lo:[0,0,1] neg_hi:[0,0,1]
	v_pk_add_f32 v[0:1], v[8:9], v[0:1] neg_lo:[0,1] neg_hi:[0,1]
	v_mov_b32_e32 v21, v5
	v_pk_fma_f32 v[2:3], v[8:9], 2.0, v[0:1] op_sel_hi:[1,0,1] neg_lo:[0,0,1] neg_hi:[0,0,1]
	v_pk_fma_f32 v[8:9], v[18:19], 2.0, v[20:21] op_sel_hi:[1,0,1] neg_lo:[0,0,1] neg_hi:[0,0,1]
	v_pk_add_f32 v[12:13], v[10:11], v[6:7] neg_lo:[0,1] neg_hi:[0,1]
	v_pk_fma_f32 v[6:7], v[14:15], 2.0, v[16:17] op_sel_hi:[1,0,1] neg_lo:[0,0,1] neg_hi:[0,0,1]
	s_mov_b32 s0, 0x3f3504f3
	v_pk_fma_f32 v[4:5], v[10:11], 2.0, v[12:13] op_sel_hi:[1,0,1] neg_lo:[0,0,1] neg_hi:[0,0,1]
	v_pk_mul_f32 v[10:11], v[6:7], s[0:1] op_sel_hi:[1,0]
	v_pk_fma_f32 v[14:15], v[6:7], s[0:1], v[8:9] op_sel_hi:[1,0,1] neg_lo:[1,0,0] neg_hi:[1,0,0]
	v_pk_add_f32 v[4:5], v[2:3], v[4:5] neg_lo:[0,1] neg_hi:[0,1]
	v_pk_add_f32 v[6:7], v[14:15], v[10:11] op_sel:[0,1] op_sel_hi:[1,0] neg_lo:[0,1] neg_hi:[0,1]
	v_pk_add_f32 v[10:11], v[14:15], v[10:11] op_sel:[0,1] op_sel_hi:[1,0]
	v_lshlrev_b16_e32 v53, 3, v35
	v_mov_b32_e32 v7, v11
	v_mov_b32_e32 v11, v12
	;; [unrolled: 1-line block ×4, first 2 shown]
	v_pk_add_f32 v[12:13], v[0:1], v[12:13] neg_lo:[0,1] neg_hi:[0,1]
	v_pk_add_f32 v[10:11], v[10:11], v[0:1]
	s_nop 0
	v_mov_b32_e32 v13, v11
	v_pk_mul_f32 v[10:11], v[16:17], s[0:1] op_sel_hi:[1,0]
	v_pk_fma_f32 v[16:17], v[16:17], s[0:1], v[20:21] op_sel_hi:[1,0,1]
	s_barrier
	v_pk_add_f32 v[14:15], v[16:17], v[10:11] op_sel:[0,1] op_sel_hi:[1,0] neg_lo:[0,1] neg_hi:[0,1]
	v_pk_add_f32 v[10:11], v[16:17], v[10:11] op_sel:[0,1] op_sel_hi:[1,0]
	s_nop 0
	v_mov_b32_e32 v15, v11
	v_pk_fma_f32 v[10:11], v[20:21], 2.0, v[14:15] op_sel_hi:[1,0,1] neg_lo:[0,0,1] neg_hi:[0,0,1]
	s_and_saveexec_b64 s[0:1], s[2:3]
	s_cbranch_execz .LBB0_7
; %bb.6:
	v_lshlrev_b32_e32 v20, 3, v53
	v_pk_fma_f32 v[16:17], v[2:3], 2.0, v[4:5] op_sel_hi:[1,0,1] neg_lo:[0,0,1] neg_hi:[0,0,1]
	v_pk_fma_f32 v[18:19], v[8:9], 2.0, v[6:7] op_sel_hi:[1,0,1] neg_lo:[0,0,1] neg_hi:[0,0,1]
	;; [unrolled: 1-line block ×3, first 2 shown]
	ds_write_b128 v20, v[16:19]
	ds_write_b128 v20, v[8:11] offset:16
	ds_write_b128 v20, v[4:7] offset:32
	;; [unrolled: 1-line block ×3, first 2 shown]
.LBB0_7:
	s_or_b64 exec, exec, s[0:1]
	v_and_b32_e32 v20, 7, v35
	v_lshlrev_b32_e32 v0, 4, v20
	s_load_dwordx4 s[4:7], s[4:5], 0x0
	s_waitcnt lgkmcnt(0)
	s_barrier
	global_load_dwordx4 v[0:3], v0, s[10:11]
	v_lshrrev_b32_e32 v21, 3, v35
	s_movk_i32 s1, 0xab
	ds_read2_b64 v[16:19], v32 offset1:216
	ds_read_b64 v[8:9], v32 offset:3456
	v_mul_u32_u24_e32 v21, 24, v21
	v_mul_lo_u16_sdwa v22, v35, s1 dst_sel:DWORD dst_unused:UNUSED_PAD src0_sel:BYTE_0 src1_sel:DWORD
	v_or_b32_e32 v20, v21, v20
	v_lshrrev_b16_e32 v23, 12, v22
	v_lshlrev_b32_e32 v52, 3, v20
	v_mul_lo_u16_e32 v20, 24, v23
	v_sub_u16_e32 v20, v35, v20
	v_and_b32_e32 v26, 0xff, v20
	s_mov_b32 s0, 0x3f5db3d7
	v_lshlrev_b32_e32 v27, 4, v26
	s_waitcnt lgkmcnt(0)
	s_barrier
	s_waitcnt vmcnt(0)
	v_pk_mul_f32 v[20:21], v[18:19], v[0:1] op_sel:[0,1]
	v_mov_b32_e32 v22, v3
	v_pk_fma_f32 v[24:25], v[18:19], v[0:1], v[20:21] op_sel:[0,0,1] op_sel_hi:[1,1,0] neg_lo:[0,0,1] neg_hi:[0,0,1]
	v_pk_fma_f32 v[18:19], v[18:19], v[0:1], v[20:21] op_sel:[0,0,1] op_sel_hi:[1,0,0]
	v_pk_mul_f32 v[20:21], v[8:9], v[22:23] op_sel_hi:[1,0]
	v_mov_b32_e32 v25, v19
	v_pk_fma_f32 v[18:19], v[8:9], v[2:3], v[20:21] op_sel:[0,0,1] op_sel_hi:[1,1,0] neg_lo:[0,0,1] neg_hi:[0,0,1]
	v_pk_fma_f32 v[8:9], v[8:9], v[2:3], v[20:21] op_sel:[0,0,1] op_sel_hi:[1,0,0]
	s_nop 0
	v_mov_b32_e32 v19, v9
	v_pk_add_f32 v[8:9], v[16:17], v[24:25]
	v_pk_add_f32 v[20:21], v[24:25], v[18:19]
	;; [unrolled: 1-line block ×3, first 2 shown]
	v_pk_add_f32 v[18:19], v[24:25], v[18:19] neg_lo:[0,1] neg_hi:[0,1]
	v_pk_fma_f32 v[16:17], v[20:21], 0.5, v[16:17] op_sel_hi:[1,0,1] neg_lo:[1,0,0] neg_hi:[1,0,0]
	v_pk_mul_f32 v[18:19], v[18:19], s[0:1] op_sel_hi:[1,0]
	s_nop 0
	v_pk_add_f32 v[20:21], v[16:17], v[18:19] op_sel:[0,1] op_sel_hi:[1,0]
	v_pk_add_f32 v[16:17], v[16:17], v[18:19] op_sel:[0,1] op_sel_hi:[1,0] neg_lo:[0,1] neg_hi:[0,1]
	v_mov_b32_e32 v18, v20
	v_mov_b32_e32 v19, v17
	;; [unrolled: 1-line block ×3, first 2 shown]
	ds_write2_b64 v52, v[8:9], v[18:19] offset1:8
	ds_write_b64 v52, v[16:17] offset:128
	s_waitcnt lgkmcnt(0)
	s_barrier
	global_load_dwordx4 v[16:19], v27, s[10:11] offset:128
	v_mov_b32_e32 v8, 57
	v_mul_lo_u16_sdwa v8, v35, v8 dst_sel:DWORD dst_unused:UNUSED_PAD src0_sel:BYTE_0 src1_sel:DWORD
	v_lshrrev_b16_e32 v27, 12, v8
	v_mul_lo_u16_e32 v9, 0x48, v27
	v_mul_u32_u24_e32 v8, 0x48, v23
	v_sub_u16_e32 v9, v35, v9
	v_and_b32_e32 v30, 0xff, v9
	v_add_lshl_u32 v54, v8, v26, 3
	ds_read2_b64 v[20:23], v32 offset1:216
	ds_read_b64 v[8:9], v32 offset:3456
	v_lshlrev_b32_e32 v31, 4, v30
	s_waitcnt lgkmcnt(0)
	s_barrier
	s_waitcnt vmcnt(0)
	v_pk_mul_f32 v[24:25], v[22:23], v[16:17] op_sel:[0,1]
	v_mov_b32_e32 v26, v19
	v_pk_fma_f32 v[28:29], v[22:23], v[16:17], v[24:25] op_sel:[0,0,1] op_sel_hi:[1,1,0] neg_lo:[0,0,1] neg_hi:[0,0,1]
	v_pk_fma_f32 v[22:23], v[22:23], v[16:17], v[24:25] op_sel:[0,0,1] op_sel_hi:[1,0,0]
	v_pk_mul_f32 v[24:25], v[8:9], v[26:27] op_sel_hi:[1,0]
	v_mov_b32_e32 v29, v23
	v_pk_fma_f32 v[22:23], v[8:9], v[18:19], v[24:25] op_sel:[0,0,1] op_sel_hi:[1,1,0] neg_lo:[0,0,1] neg_hi:[0,0,1]
	v_pk_fma_f32 v[8:9], v[8:9], v[18:19], v[24:25] op_sel:[0,0,1] op_sel_hi:[1,0,0]
	s_nop 0
	v_mov_b32_e32 v23, v9
	v_pk_add_f32 v[8:9], v[20:21], v[28:29]
	v_pk_add_f32 v[24:25], v[28:29], v[22:23]
	;; [unrolled: 1-line block ×3, first 2 shown]
	v_pk_add_f32 v[22:23], v[28:29], v[22:23] neg_lo:[0,1] neg_hi:[0,1]
	v_pk_fma_f32 v[20:21], v[24:25], 0.5, v[20:21] op_sel_hi:[1,0,1] neg_lo:[1,0,0] neg_hi:[1,0,0]
	v_pk_mul_f32 v[22:23], v[22:23], s[0:1] op_sel_hi:[1,0]
	s_nop 0
	v_pk_add_f32 v[24:25], v[20:21], v[22:23] op_sel:[0,1] op_sel_hi:[1,0]
	v_pk_add_f32 v[20:21], v[20:21], v[22:23] op_sel:[0,1] op_sel_hi:[1,0] neg_lo:[0,1] neg_hi:[0,1]
	v_mov_b32_e32 v22, v24
	v_mov_b32_e32 v23, v21
	;; [unrolled: 1-line block ×3, first 2 shown]
	ds_write2_b64 v54, v[8:9], v[22:23] offset1:24
	ds_write_b64 v54, v[20:21] offset:384
	s_waitcnt lgkmcnt(0)
	s_barrier
	global_load_dwordx4 v[20:23], v31, s[10:11] offset:512
	v_mul_u32_u24_e32 v8, 0xd8, v27
	v_add_lshl_u32 v55, v8, v30, 3
	ds_read2_b64 v[24:27], v32 offset1:216
	ds_read_b64 v[8:9], v32 offset:3456
	v_lshlrev_b32_e32 v31, 4, v35
	s_waitcnt lgkmcnt(0)
	s_barrier
	s_waitcnt vmcnt(0)
	v_pk_mul_f32 v[28:29], v[26:27], v[20:21] op_sel:[0,1]
	v_mov_b32_e32 v30, v23
	v_pk_fma_f32 v[36:37], v[26:27], v[20:21], v[28:29] op_sel:[0,0,1] op_sel_hi:[1,1,0] neg_lo:[0,0,1] neg_hi:[0,0,1]
	v_pk_fma_f32 v[26:27], v[26:27], v[20:21], v[28:29] op_sel:[0,0,1] op_sel_hi:[1,0,0]
	v_pk_mul_f32 v[28:29], v[8:9], v[30:31] op_sel_hi:[1,0]
	v_mov_b32_e32 v37, v27
	v_pk_fma_f32 v[26:27], v[8:9], v[22:23], v[28:29] op_sel:[0,0,1] op_sel_hi:[1,1,0] neg_lo:[0,0,1] neg_hi:[0,0,1]
	v_pk_fma_f32 v[8:9], v[8:9], v[22:23], v[28:29] op_sel:[0,0,1] op_sel_hi:[1,0,0]
	s_nop 0
	v_mov_b32_e32 v27, v9
	v_pk_add_f32 v[8:9], v[24:25], v[36:37]
	v_pk_add_f32 v[28:29], v[36:37], v[26:27]
	;; [unrolled: 1-line block ×3, first 2 shown]
	v_pk_add_f32 v[26:27], v[36:37], v[26:27] neg_lo:[0,1] neg_hi:[0,1]
	v_pk_fma_f32 v[24:25], v[28:29], 0.5, v[24:25] op_sel_hi:[1,0,1] neg_lo:[1,0,0] neg_hi:[1,0,0]
	v_pk_mul_f32 v[26:27], v[26:27], s[0:1] op_sel_hi:[1,0]
	s_nop 0
	v_pk_add_f32 v[28:29], v[24:25], v[26:27] op_sel:[0,1] op_sel_hi:[1,0]
	v_pk_add_f32 v[24:25], v[24:25], v[26:27] op_sel:[0,1] op_sel_hi:[1,0] neg_lo:[0,1] neg_hi:[0,1]
	v_mov_b32_e32 v26, v28
	v_mov_b32_e32 v27, v25
	;; [unrolled: 1-line block ×3, first 2 shown]
	ds_write2_b64 v55, v[8:9], v[26:27] offset1:72
	ds_write_b64 v55, v[24:25] offset:1152
	s_waitcnt lgkmcnt(0)
	s_barrier
	global_load_dwordx4 v[24:27], v31, s[10:11] offset:1664
	ds_read2_b64 v[36:39], v32 offset1:216
	ds_read_b64 v[8:9], v32 offset:3456
	s_waitcnt vmcnt(0) lgkmcnt(1)
	v_pk_mul_f32 v[28:29], v[38:39], v[24:25] op_sel:[0,1]
	v_mov_b32_e32 v30, v27
	v_pk_fma_f32 v[40:41], v[38:39], v[24:25], v[28:29] op_sel:[0,0,1] op_sel_hi:[1,1,0] neg_lo:[0,0,1] neg_hi:[0,0,1]
	v_pk_fma_f32 v[28:29], v[38:39], v[24:25], v[28:29] op_sel:[0,0,1] op_sel_hi:[1,0,0]
	s_waitcnt lgkmcnt(0)
	v_pk_mul_f32 v[30:31], v[8:9], v[30:31] op_sel_hi:[1,0]
	v_mov_b32_e32 v41, v29
	v_pk_fma_f32 v[38:39], v[8:9], v[26:27], v[30:31] op_sel:[0,0,1] op_sel_hi:[1,1,0] neg_lo:[0,0,1] neg_hi:[0,0,1]
	v_pk_fma_f32 v[8:9], v[8:9], v[26:27], v[30:31] op_sel:[0,0,1] op_sel_hi:[1,0,0]
	s_nop 0
	v_mov_b32_e32 v39, v9
	v_pk_add_f32 v[8:9], v[36:37], v[40:41]
	v_pk_add_f32 v[30:31], v[40:41], v[38:39] neg_lo:[0,1] neg_hi:[0,1]
	v_pk_add_f32 v[28:29], v[8:9], v[38:39]
	v_pk_add_f32 v[8:9], v[40:41], v[38:39]
	v_pk_mul_f32 v[30:31], v[30:31], s[0:1] op_sel_hi:[1,0]
	v_pk_fma_f32 v[8:9], v[8:9], 0.5, v[36:37] op_sel_hi:[1,0,1] neg_lo:[1,0,0] neg_hi:[1,0,0]
	s_nop 0
	v_pk_add_f32 v[36:37], v[8:9], v[30:31] op_sel:[0,1] op_sel_hi:[1,0]
	v_pk_add_f32 v[8:9], v[8:9], v[30:31] op_sel:[0,1] op_sel_hi:[1,0] neg_lo:[0,1] neg_hi:[0,1]
	v_mov_b32_e32 v30, v36
	v_mov_b32_e32 v31, v9
	;; [unrolled: 1-line block ×3, first 2 shown]
	ds_write2_b64 v32, v[28:29], v[30:31] offset1:216
	ds_write_b64 v32, v[8:9] offset:3456
	s_waitcnt lgkmcnt(0)
	s_barrier
	s_and_saveexec_b64 s[0:1], s[2:3]
	s_cbranch_execz .LBB0_9
; %bb.8:
	v_mov_b32_e32 v33, 0
	v_lshl_add_u64 v[36:37], s[8:9], 0, v[32:33]
	v_add_co_u32_e32 v38, vcc, 0x1000, v36
	s_mov_b64 s[10:11], 0x1440
	s_nop 0
	v_addc_co_u32_e32 v39, vcc, 0, v37, vcc
	global_load_dwordx2 v[38:39], v[38:39], off offset:1088
	v_add_co_u32_e32 v40, vcc, 0x2000, v36
	v_add_u32_e32 v33, 0x400, v32
	s_nop 0
	v_addc_co_u32_e32 v41, vcc, 0, v37, vcc
	global_load_dwordx2 v[40:41], v[40:41], off offset:1528
	v_lshl_add_u64 v[36:37], v[36:37], 0, s[10:11]
	global_load_dwordx2 v[48:49], v[36:37], off offset:648
	global_load_dwordx2 v[50:51], v[36:37], off offset:1296
	;; [unrolled: 1-line block ×6, first 2 shown]
	ds_read_b64 v[36:37], v32
	ds_read_b64 v[42:43], v32 offset:4536
	v_add_u32_e32 v68, 0x800, v32
	s_waitcnt vmcnt(7) lgkmcnt(1)
	v_mul_f32_e32 v44, v37, v39
	v_mul_f32_e32 v45, v36, v39
	v_fma_f32 v44, v36, v38, -v44
	v_fmac_f32_e32 v45, v37, v38
	ds_write_b64 v32, v[44:45]
	ds_read2_b64 v[36:39], v32 offset0:81 offset1:162
	s_waitcnt vmcnt(6) lgkmcnt(2)
	v_mul_f32_e32 v46, v43, v41
	v_mul_f32_e32 v65, v42, v41
	v_fma_f32 v64, v42, v40, -v46
	v_fmac_f32_e32 v65, v43, v40
	ds_read2_b64 v[40:43], v33 offset0:115 offset1:196
	ds_read2_b64 v[44:47], v68 offset0:149 offset1:230
	s_waitcnt vmcnt(5) lgkmcnt(2)
	v_mul_f32_e32 v66, v37, v49
	v_mul_f32_e32 v67, v36, v49
	s_waitcnt vmcnt(4)
	v_mul_f32_e32 v69, v39, v51
	v_mul_f32_e32 v49, v38, v51
	s_waitcnt vmcnt(3) lgkmcnt(1)
	v_mul_f32_e32 v70, v41, v57
	v_mul_f32_e32 v51, v40, v57
	s_waitcnt vmcnt(2)
	v_mul_f32_e32 v71, v43, v59
	v_mul_f32_e32 v57, v42, v59
	;; [unrolled: 6-line block ×3, first 2 shown]
	v_fma_f32 v66, v36, v48, -v66
	v_fmac_f32_e32 v67, v37, v48
	v_fma_f32 v48, v38, v50, -v69
	v_fmac_f32_e32 v49, v39, v50
	v_fma_f32 v50, v40, v56, -v70
	v_fmac_f32_e32 v51, v41, v56
	v_fma_f32 v56, v42, v58, -v71
	v_fmac_f32_e32 v57, v43, v58
	v_fma_f32 v58, v44, v60, -v72
	v_fmac_f32_e32 v59, v45, v60
	v_fma_f32 v60, v46, v62, -v73
	v_fmac_f32_e32 v61, v47, v62
	ds_write2_b64 v32, v[66:67], v[48:49] offset0:81 offset1:162
	ds_write2_b64 v33, v[50:51], v[56:57] offset0:115 offset1:196
	;; [unrolled: 1-line block ×3, first 2 shown]
	ds_write_b64 v32, v[64:65] offset:4536
.LBB0_9:
	s_or_b64 exec, exec, s[0:1]
	s_waitcnt lgkmcnt(0)
	s_barrier
	s_and_saveexec_b64 s[0:1], s[2:3]
	s_cbranch_execz .LBB0_11
; %bb.10:
	v_add_u32_e32 v4, 0x800, v32
	v_add_u32_e32 v12, 0xc00, v32
	ds_read2_b64 v[28:31], v32 offset1:81
	ds_read2_b64 v[8:11], v32 offset0:162 offset1:243
	ds_read2_b64 v[4:7], v4 offset0:68 offset1:149
	;; [unrolled: 1-line block ×3, first 2 shown]
.LBB0_11:
	s_or_b64 exec, exec, s[0:1]
	v_mov_b32_e32 v50, v0
	v_mov_b32_e32 v51, v0
	;; [unrolled: 1-line block ×24, first 2 shown]
	s_waitcnt lgkmcnt(0)
	s_barrier
	s_and_saveexec_b64 s[0:1], s[2:3]
	s_cbranch_execz .LBB0_13
; %bb.12:
	v_pk_add_f32 v[56:57], v[28:29], v[4:5] neg_lo:[0,1] neg_hi:[0,1]
	v_pk_add_f32 v[12:13], v[8:9], v[12:13] neg_lo:[0,1] neg_hi:[0,1]
	;; [unrolled: 1-line block ×4, first 2 shown]
	v_pk_fma_f32 v[4:5], v[28:29], 2.0, v[56:57] op_sel_hi:[1,0,1] neg_lo:[0,0,1] neg_hi:[0,0,1]
	v_pk_fma_f32 v[8:9], v[8:9], 2.0, v[12:13] op_sel_hi:[1,0,1] neg_lo:[0,0,1] neg_hi:[0,0,1]
	;; [unrolled: 1-line block ×3, first 2 shown]
	v_pk_add_f32 v[28:29], v[4:5], v[8:9] neg_lo:[0,1] neg_hi:[0,1]
	v_pk_fma_f32 v[8:9], v[30:31], 2.0, v[6:7] op_sel_hi:[1,0,1] neg_lo:[0,0,1] neg_hi:[0,0,1]
	v_pk_add_f32 v[58:59], v[56:57], v[12:13] op_sel:[0,1] op_sel_hi:[1,0]
	v_pk_add_f32 v[30:31], v[8:9], v[10:11] neg_lo:[0,1] neg_hi:[0,1]
	v_pk_fma_f32 v[10:11], v[4:5], 2.0, v[28:29] op_sel_hi:[1,0,1] neg_lo:[0,0,1] neg_hi:[0,0,1]
	v_pk_fma_f32 v[4:5], v[8:9], 2.0, v[30:31] op_sel_hi:[1,0,1] neg_lo:[0,0,1] neg_hi:[0,0,1]
	v_pk_add_f32 v[60:61], v[6:7], v[14:15] op_sel:[0,1] op_sel_hi:[1,0]
	v_pk_add_f32 v[4:5], v[10:11], v[4:5] neg_lo:[0,1] neg_hi:[0,1]
	s_mov_b32 s10, 0x3f3504f3
	v_pk_fma_f32 v[8:9], v[10:11], 2.0, v[4:5] op_sel_hi:[1,0,1] neg_lo:[0,0,1] neg_hi:[0,0,1]
	v_pk_add_f32 v[10:11], v[56:57], v[12:13] op_sel:[0,1] op_sel_hi:[1,0] neg_lo:[0,1] neg_hi:[0,1]
	v_lshlrev_b32_e32 v33, 3, v53
	v_mov_b32_e32 v59, v11
	v_pk_add_f32 v[10:11], v[6:7], v[14:15] op_sel:[0,1] op_sel_hi:[1,0] neg_lo:[0,1] neg_hi:[0,1]
	v_pk_fma_f32 v[12:13], v[56:57], 2.0, v[58:59] op_sel_hi:[1,0,1] neg_lo:[0,0,1] neg_hi:[0,0,1]
	v_mov_b32_e32 v61, v11
	v_pk_fma_f32 v[6:7], v[6:7], 2.0, v[60:61] op_sel_hi:[1,0,1] neg_lo:[0,0,1] neg_hi:[0,0,1]
	s_nop 0
	v_pk_mul_f32 v[10:11], v[6:7], s[10:11] op_sel_hi:[1,0]
	v_pk_fma_f32 v[14:15], v[6:7], s[10:11], v[12:13] op_sel_hi:[1,0,1] neg_lo:[1,0,0] neg_hi:[1,0,0]
	s_nop 0
	v_pk_add_f32 v[6:7], v[14:15], v[10:11] op_sel:[0,1] op_sel_hi:[1,0]
	v_pk_add_f32 v[56:57], v[14:15], v[10:11] op_sel:[0,1] op_sel_hi:[1,0] neg_lo:[0,1] neg_hi:[0,1]
	v_pk_mul_f32 v[14:15], v[60:61], s[10:11] op_sel_hi:[1,0]
	v_mov_b32_e32 v7, v57
	v_pk_fma_f32 v[10:11], v[12:13], 2.0, v[6:7] op_sel_hi:[1,0,1] neg_lo:[0,0,1] neg_hi:[0,0,1]
	ds_write_b128 v33, v[8:11]
	v_pk_add_f32 v[8:9], v[28:29], v[30:31] op_sel:[0,1] op_sel_hi:[1,0]
	v_pk_add_f32 v[30:31], v[28:29], v[30:31] op_sel:[0,1] op_sel_hi:[1,0] neg_lo:[0,1] neg_hi:[0,1]
	s_nop 0
	v_mov_b32_e32 v9, v31
	v_pk_fma_f32 v[12:13], v[28:29], 2.0, v[8:9] op_sel_hi:[1,0,1] neg_lo:[0,0,1] neg_hi:[0,0,1]
	v_pk_fma_f32 v[28:29], v[60:61], s[10:11], v[58:59] op_sel_hi:[1,0,1]
	s_nop 0
	v_pk_add_f32 v[10:11], v[28:29], v[14:15] op_sel:[0,1] op_sel_hi:[1,0]
	v_pk_add_f32 v[28:29], v[28:29], v[14:15] op_sel:[0,1] op_sel_hi:[1,0] neg_lo:[0,1] neg_hi:[0,1]
	s_nop 0
	v_mov_b32_e32 v11, v29
	v_pk_fma_f32 v[14:15], v[58:59], 2.0, v[10:11] op_sel_hi:[1,0,1] neg_lo:[0,0,1] neg_hi:[0,0,1]
	ds_write_b128 v33, v[12:15] offset:16
	ds_write_b128 v33, v[4:7] offset:32
	;; [unrolled: 1-line block ×3, first 2 shown]
.LBB0_13:
	s_or_b64 exec, exec, s[0:1]
	s_waitcnt lgkmcnt(0)
	s_barrier
	ds_read2_b64 v[4:7], v32 offset1:216
	ds_read_b64 v[8:9], v32 offset:3456
	s_mov_b32 s0, 0x3f5db3d7
	s_waitcnt lgkmcnt(0)
	s_barrier
	v_pk_mul_f32 v[0:1], v[0:1], v[6:7]
	s_nop 0
	v_pk_fma_f32 v[10:11], v[50:51], v[6:7], v[0:1] op_sel:[0,0,1] op_sel_hi:[1,1,0]
	v_pk_fma_f32 v[0:1], v[50:51], v[6:7], v[0:1] op_sel:[0,0,1] op_sel_hi:[1,1,0] neg_lo:[0,0,1] neg_hi:[0,0,1]
	s_nop 0
	v_mov_b32_e32 v11, v1
	v_pk_mul_f32 v[0:1], v[2:3], v[8:9]
	s_nop 0
	v_pk_fma_f32 v[2:3], v[48:49], v[8:9], v[0:1] op_sel:[0,0,1] op_sel_hi:[1,1,0]
	v_pk_fma_f32 v[0:1], v[48:49], v[8:9], v[0:1] op_sel:[0,0,1] op_sel_hi:[1,1,0] neg_lo:[0,0,1] neg_hi:[0,0,1]
	s_nop 0
	v_mov_b32_e32 v3, v1
	v_pk_add_f32 v[0:1], v[4:5], v[10:11]
	v_pk_add_f32 v[6:7], v[10:11], v[2:3]
	;; [unrolled: 1-line block ×3, first 2 shown]
	v_pk_add_f32 v[2:3], v[10:11], v[2:3] neg_lo:[0,1] neg_hi:[0,1]
	v_pk_fma_f32 v[4:5], v[6:7], 0.5, v[4:5] op_sel_hi:[1,0,1] neg_lo:[1,0,0] neg_hi:[1,0,0]
	v_pk_mul_f32 v[2:3], v[2:3], s[0:1] op_sel_hi:[1,0]
	s_nop 0
	v_pk_add_f32 v[6:7], v[4:5], v[2:3] op_sel:[0,1] op_sel_hi:[1,0] neg_lo:[0,1] neg_hi:[0,1]
	v_pk_add_f32 v[2:3], v[4:5], v[2:3] op_sel:[0,1] op_sel_hi:[1,0]
	v_mov_b32_e32 v4, v6
	v_mov_b32_e32 v5, v3
	;; [unrolled: 1-line block ×3, first 2 shown]
	ds_write2_b64 v52, v[0:1], v[4:5] offset1:8
	ds_write_b64 v52, v[2:3] offset:128
	s_waitcnt lgkmcnt(0)
	s_barrier
	ds_read2_b64 v[0:3], v32 offset1:216
	ds_read_b64 v[4:5], v32 offset:3456
	s_waitcnt lgkmcnt(0)
	s_barrier
	v_pk_mul_f32 v[6:7], v[16:17], v[2:3]
	s_nop 0
	v_pk_fma_f32 v[8:9], v[46:47], v[2:3], v[6:7] op_sel:[0,0,1] op_sel_hi:[1,1,0]
	v_pk_fma_f32 v[2:3], v[46:47], v[2:3], v[6:7] op_sel:[0,0,1] op_sel_hi:[1,1,0] neg_lo:[0,0,1] neg_hi:[0,0,1]
	s_nop 0
	v_mov_b32_e32 v9, v3
	v_pk_mul_f32 v[2:3], v[18:19], v[4:5]
	s_nop 0
	v_pk_fma_f32 v[6:7], v[44:45], v[4:5], v[2:3] op_sel:[0,0,1] op_sel_hi:[1,1,0]
	v_pk_fma_f32 v[2:3], v[44:45], v[4:5], v[2:3] op_sel:[0,0,1] op_sel_hi:[1,1,0] neg_lo:[0,0,1] neg_hi:[0,0,1]
	s_nop 0
	v_mov_b32_e32 v7, v3
	v_pk_add_f32 v[4:5], v[8:9], v[6:7]
	v_pk_add_f32 v[2:3], v[0:1], v[8:9]
	v_pk_fma_f32 v[0:1], v[4:5], 0.5, v[0:1] op_sel_hi:[1,0,1] neg_lo:[1,0,0] neg_hi:[1,0,0]
	v_pk_add_f32 v[4:5], v[8:9], v[6:7] neg_lo:[0,1] neg_hi:[0,1]
	v_pk_add_f32 v[2:3], v[2:3], v[6:7]
	v_pk_mul_f32 v[4:5], v[4:5], s[0:1] op_sel_hi:[1,0]
	s_nop 0
	v_pk_add_f32 v[6:7], v[0:1], v[4:5] op_sel:[0,1] op_sel_hi:[1,0] neg_lo:[0,1] neg_hi:[0,1]
	v_pk_add_f32 v[0:1], v[0:1], v[4:5] op_sel:[0,1] op_sel_hi:[1,0]
	v_mov_b32_e32 v4, v6
	v_mov_b32_e32 v5, v1
	;; [unrolled: 1-line block ×3, first 2 shown]
	ds_write2_b64 v54, v[2:3], v[4:5] offset1:24
	ds_write_b64 v54, v[0:1] offset:384
	s_waitcnt lgkmcnt(0)
	s_barrier
	ds_read2_b64 v[0:3], v32 offset1:216
	ds_read_b64 v[4:5], v32 offset:3456
	s_waitcnt lgkmcnt(0)
	s_barrier
	v_pk_mul_f32 v[6:7], v[20:21], v[2:3]
	s_nop 0
	v_pk_fma_f32 v[8:9], v[42:43], v[2:3], v[6:7] op_sel:[0,0,1] op_sel_hi:[1,1,0]
	v_pk_fma_f32 v[2:3], v[42:43], v[2:3], v[6:7] op_sel:[0,0,1] op_sel_hi:[1,1,0] neg_lo:[0,0,1] neg_hi:[0,0,1]
	s_nop 0
	v_mov_b32_e32 v9, v3
	v_pk_mul_f32 v[2:3], v[22:23], v[4:5]
	s_nop 0
	v_pk_fma_f32 v[6:7], v[40:41], v[4:5], v[2:3] op_sel:[0,0,1] op_sel_hi:[1,1,0]
	v_pk_fma_f32 v[2:3], v[40:41], v[4:5], v[2:3] op_sel:[0,0,1] op_sel_hi:[1,1,0] neg_lo:[0,0,1] neg_hi:[0,0,1]
	s_nop 0
	v_mov_b32_e32 v7, v3
	v_pk_add_f32 v[4:5], v[8:9], v[6:7]
	v_pk_add_f32 v[2:3], v[0:1], v[8:9]
	v_pk_fma_f32 v[0:1], v[4:5], 0.5, v[0:1] op_sel_hi:[1,0,1] neg_lo:[1,0,0] neg_hi:[1,0,0]
	v_pk_add_f32 v[4:5], v[8:9], v[6:7] neg_lo:[0,1] neg_hi:[0,1]
	v_pk_add_f32 v[2:3], v[2:3], v[6:7]
	v_pk_mul_f32 v[4:5], v[4:5], s[0:1] op_sel_hi:[1,0]
	s_nop 0
	v_pk_add_f32 v[6:7], v[0:1], v[4:5] op_sel:[0,1] op_sel_hi:[1,0] neg_lo:[0,1] neg_hi:[0,1]
	v_pk_add_f32 v[0:1], v[0:1], v[4:5] op_sel:[0,1] op_sel_hi:[1,0]
	v_mov_b32_e32 v4, v6
	v_mov_b32_e32 v5, v1
	;; [unrolled: 1-line block ×3, first 2 shown]
	ds_write2_b64 v55, v[2:3], v[4:5] offset1:72
	ds_write_b64 v55, v[0:1] offset:1152
	s_waitcnt lgkmcnt(0)
	s_barrier
	ds_read2_b64 v[0:3], v32 offset1:216
	ds_read_b64 v[4:5], v32 offset:3456
	s_waitcnt lgkmcnt(1)
	v_pk_mul_f32 v[6:7], v[24:25], v[2:3]
	s_nop 0
	v_pk_fma_f32 v[8:9], v[38:39], v[2:3], v[6:7] op_sel:[0,0,1] op_sel_hi:[1,1,0]
	v_pk_fma_f32 v[2:3], v[38:39], v[2:3], v[6:7] op_sel:[0,0,1] op_sel_hi:[1,1,0] neg_lo:[0,0,1] neg_hi:[0,0,1]
	s_nop 0
	v_mov_b32_e32 v9, v3
	s_waitcnt lgkmcnt(0)
	v_pk_mul_f32 v[2:3], v[26:27], v[4:5]
	s_nop 0
	v_pk_fma_f32 v[6:7], v[36:37], v[4:5], v[2:3] op_sel:[0,0,1] op_sel_hi:[1,1,0]
	v_pk_fma_f32 v[2:3], v[36:37], v[4:5], v[2:3] op_sel:[0,0,1] op_sel_hi:[1,1,0] neg_lo:[0,0,1] neg_hi:[0,0,1]
	s_nop 0
	v_mov_b32_e32 v7, v3
	v_pk_add_f32 v[4:5], v[8:9], v[6:7]
	v_pk_add_f32 v[2:3], v[0:1], v[8:9]
	v_pk_fma_f32 v[0:1], v[4:5], 0.5, v[0:1] op_sel_hi:[1,0,1] neg_lo:[1,0,0] neg_hi:[1,0,0]
	v_pk_add_f32 v[4:5], v[8:9], v[6:7] neg_lo:[0,1] neg_hi:[0,1]
	v_pk_add_f32 v[2:3], v[2:3], v[6:7]
	v_pk_mul_f32 v[4:5], v[4:5], s[0:1] op_sel_hi:[1,0]
	s_nop 0
	v_pk_add_f32 v[6:7], v[0:1], v[4:5] op_sel:[0,1] op_sel_hi:[1,0] neg_lo:[0,1] neg_hi:[0,1]
	v_pk_add_f32 v[0:1], v[0:1], v[4:5] op_sel:[0,1] op_sel_hi:[1,0]
	v_mov_b32_e32 v4, v6
	v_mov_b32_e32 v5, v1
	;; [unrolled: 1-line block ×3, first 2 shown]
	ds_write2_b64 v32, v[2:3], v[4:5] offset1:216
	ds_write_b64 v32, v[0:1] offset:3456
	s_waitcnt lgkmcnt(0)
	s_barrier
	s_and_b64 exec, exec, s[2:3]
	s_cbranch_execz .LBB0_15
; %bb.14:
	global_load_dwordx2 v[8:9], v32, s[8:9]
	global_load_dwordx2 v[10:11], v32, s[8:9] offset:648
	global_load_dwordx2 v[12:13], v32, s[8:9] offset:1296
	;; [unrolled: 1-line block ×3, first 2 shown]
	ds_read_b64 v[20:21], v32
	global_load_dwordx2 v[22:23], v32, s[8:9] offset:2592
	ds_read2_b64 v[0:3], v32 offset0:81 offset1:162
	global_load_dwordx2 v[26:27], v32, s[8:9] offset:3240
	global_load_dwordx2 v[28:29], v32, s[8:9] offset:3888
	v_mov_b32_e32 v33, 0
	v_mad_u64_u32 v[18:19], s[0:1], s6, v34, 0
	v_mad_u64_u32 v[24:25], s[2:3], s4, v35, 0
	s_movk_i32 s10, 0x1000
	v_lshl_add_u64 v[38:39], s[8:9], 0, v[32:33]
	v_mov_b32_e32 v41, 0x288
	v_mov_b32_e32 v36, v19
	;; [unrolled: 1-line block ×3, first 2 shown]
	v_add_co_u32_e32 v38, vcc, s10, v38
	v_mad_u64_u32 v[36:37], s[2:3], s7, v34, v[36:37]
	v_mad_u64_u32 v[34:35], s[2:3], s5, v35, v[40:41]
	v_addc_co_u32_e32 v39, vcc, 0, v39, vcc
	v_mov_b32_e32 v25, v34
	global_load_dwordx2 v[34:35], v[38:39], off offset:440
	v_add_u32_e32 v4, 0x400, v32
	ds_read2_b64 v[4:7], v4 offset0:115 offset1:196
	v_mov_b32_e32 v16, s12
	v_mov_b32_e32 v17, s13
	;; [unrolled: 1-line block ×3, first 2 shown]
	v_lshl_add_u64 v[16:17], v[18:19], 3, v[16:17]
	s_mov_b32 s0, 0xfcd6e9e0
	v_lshl_add_u64 v[16:17], v[24:25], 3, v[16:17]
	s_mov_b32 s1, 0x3f5948b0
	s_mul_i32 s6, s5, 0x288
	v_mad_u64_u32 v[18:19], s[2:3], s4, v41, v[16:17]
	v_add_u32_e32 v19, s6, v19
	v_mad_u64_u32 v[24:25], s[2:3], s4, v41, v[18:19]
	ds_read_b64 v[30:31], v32 offset:4536
	v_add_u32_e32 v25, s6, v25
	s_waitcnt vmcnt(7) lgkmcnt(3)
	v_mul_f32_e32 v33, v21, v9
	v_mul_f32_e32 v9, v20, v9
	s_waitcnt vmcnt(6) lgkmcnt(2)
	v_mul_f32_e32 v36, v1, v11
	v_mul_f32_e32 v11, v0, v11
	s_waitcnt vmcnt(5)
	v_mul_f32_e32 v37, v3, v13
	v_mul_f32_e32 v13, v2, v13
	v_fmac_f32_e32 v33, v20, v8
	v_fma_f32 v8, v8, v21, -v9
	s_waitcnt vmcnt(4) lgkmcnt(1)
	v_mul_f32_e32 v38, v5, v15
	v_mul_f32_e32 v15, v4, v15
	v_fmac_f32_e32 v36, v0, v10
	v_fma_f32 v9, v10, v1, -v11
	v_fmac_f32_e32 v37, v2, v12
	v_fma_f32 v12, v12, v3, -v13
	v_cvt_f64_f32_e32 v[0:1], v33
	v_cvt_f64_f32_e32 v[2:3], v8
	v_fmac_f32_e32 v38, v4, v14
	v_fma_f32 v20, v14, v5, -v15
	v_cvt_f64_f32_e32 v[4:5], v36
	v_cvt_f64_f32_e32 v[8:9], v9
	;; [unrolled: 1-line block ×4, first 2 shown]
	v_mul_f64 v[0:1], v[0:1], s[0:1]
	v_mul_f64 v[2:3], v[2:3], s[0:1]
	;; [unrolled: 1-line block ×6, first 2 shown]
	v_cvt_f32_f64_e32 v0, v[0:1]
	v_cvt_f32_f64_e32 v1, v[2:3]
	;; [unrolled: 1-line block ×6, first 2 shown]
	global_store_dwordx2 v[16:17], v[0:1], off
	global_store_dwordx2 v[18:19], v[2:3], off
	;; [unrolled: 1-line block ×3, first 2 shown]
	v_cvt_f64_f32_e32 v[0:1], v20
	v_mul_f64 v[0:1], v[0:1], s[0:1]
	v_cvt_f32_f64_e32 v9, v[0:1]
	s_waitcnt vmcnt(6)
	v_mul_f32_e32 v0, v7, v23
	v_cvt_f64_f32_e32 v[14:15], v38
	v_fmac_f32_e32 v0, v6, v22
	v_mul_f64 v[14:15], v[14:15], s[0:1]
	v_mad_u64_u32 v[4:5], s[2:3], s4, v41, v[24:25]
	v_cvt_f64_f32_e32 v[0:1], v0
	v_cvt_f32_f64_e32 v8, v[14:15]
	v_add_u32_e32 v5, s6, v5
	v_mul_f64 v[0:1], v[0:1], s[0:1]
	global_store_dwordx2 v[4:5], v[8:9], off
	v_cvt_f32_f64_e32 v8, v[0:1]
	v_mul_f32_e32 v0, v6, v23
	v_fma_f32 v0, v22, v7, -v0
	v_cvt_f64_f32_e32 v[0:1], v0
	v_mul_f64 v[0:1], v[0:1], s[0:1]
	v_cvt_f32_f64_e32 v9, v[0:1]
	v_add_u32_e32 v0, 0x800, v32
	ds_read2_b64 v[0:3], v0 offset0:149 offset1:230
	v_mad_u64_u32 v[4:5], s[2:3], s4, v41, v[4:5]
	v_add_u32_e32 v5, s6, v5
	global_store_dwordx2 v[4:5], v[8:9], off
	s_waitcnt vmcnt(7) lgkmcnt(0)
	v_mul_f32_e32 v6, v1, v27
	v_fmac_f32_e32 v6, v0, v26
	v_mul_f32_e32 v0, v0, v27
	v_fma_f32 v0, v26, v1, -v0
	v_cvt_f64_f32_e32 v[6:7], v6
	v_cvt_f64_f32_e32 v[0:1], v0
	v_mul_f64 v[6:7], v[6:7], s[0:1]
	v_mul_f64 v[0:1], v[0:1], s[0:1]
	v_cvt_f32_f64_e32 v6, v[6:7]
	v_cvt_f32_f64_e32 v7, v[0:1]
	v_mad_u64_u32 v[0:1], s[2:3], s4, v41, v[4:5]
	s_waitcnt vmcnt(6)
	v_mul_f32_e32 v4, v3, v29
	v_fmac_f32_e32 v4, v2, v28
	v_mul_f32_e32 v2, v2, v29
	v_fma_f32 v2, v28, v3, -v2
	v_cvt_f64_f32_e32 v[4:5], v4
	v_cvt_f64_f32_e32 v[2:3], v2
	v_mul_f64 v[4:5], v[4:5], s[0:1]
	v_mul_f64 v[2:3], v[2:3], s[0:1]
	v_cvt_f32_f64_e32 v4, v[4:5]
	v_cvt_f32_f64_e32 v5, v[2:3]
	s_waitcnt vmcnt(5)
	v_mul_f32_e32 v2, v31, v35
	v_fmac_f32_e32 v2, v30, v34
	v_cvt_f64_f32_e32 v[2:3], v2
	v_add_u32_e32 v1, s6, v1
	v_mul_f64 v[2:3], v[2:3], s[0:1]
	global_store_dwordx2 v[0:1], v[6:7], off
	v_mad_u64_u32 v[0:1], s[2:3], s4, v41, v[0:1]
	v_cvt_f32_f64_e32 v2, v[2:3]
	v_mul_f32_e32 v3, v30, v35
	v_add_u32_e32 v1, s6, v1
	v_fma_f32 v3, v34, v31, -v3
	global_store_dwordx2 v[0:1], v[4:5], off
	v_cvt_f64_f32_e32 v[4:5], v3
	v_mul_f64 v[4:5], v[4:5], s[0:1]
	v_mad_u64_u32 v[0:1], s[0:1], s4, v41, v[0:1]
	v_cvt_f32_f64_e32 v3, v[4:5]
	v_add_u32_e32 v1, s6, v1
	global_store_dwordx2 v[0:1], v[2:3], off
.LBB0_15:
	s_endpgm
	.section	.rodata,"a",@progbits
	.p2align	6, 0x0
	.amdhsa_kernel bluestein_single_fwd_len648_dim1_sp_op_CI_CI
		.amdhsa_group_segment_fixed_size 5184
		.amdhsa_private_segment_fixed_size 0
		.amdhsa_kernarg_size 104
		.amdhsa_user_sgpr_count 2
		.amdhsa_user_sgpr_dispatch_ptr 0
		.amdhsa_user_sgpr_queue_ptr 0
		.amdhsa_user_sgpr_kernarg_segment_ptr 1
		.amdhsa_user_sgpr_dispatch_id 0
		.amdhsa_user_sgpr_kernarg_preload_length 0
		.amdhsa_user_sgpr_kernarg_preload_offset 0
		.amdhsa_user_sgpr_private_segment_size 0
		.amdhsa_uses_dynamic_stack 0
		.amdhsa_enable_private_segment 0
		.amdhsa_system_sgpr_workgroup_id_x 1
		.amdhsa_system_sgpr_workgroup_id_y 0
		.amdhsa_system_sgpr_workgroup_id_z 0
		.amdhsa_system_sgpr_workgroup_info 0
		.amdhsa_system_vgpr_workitem_id 0
		.amdhsa_next_free_vgpr 74
		.amdhsa_next_free_sgpr 16
		.amdhsa_accum_offset 76
		.amdhsa_reserve_vcc 1
		.amdhsa_float_round_mode_32 0
		.amdhsa_float_round_mode_16_64 0
		.amdhsa_float_denorm_mode_32 3
		.amdhsa_float_denorm_mode_16_64 3
		.amdhsa_dx10_clamp 1
		.amdhsa_ieee_mode 1
		.amdhsa_fp16_overflow 0
		.amdhsa_tg_split 0
		.amdhsa_exception_fp_ieee_invalid_op 0
		.amdhsa_exception_fp_denorm_src 0
		.amdhsa_exception_fp_ieee_div_zero 0
		.amdhsa_exception_fp_ieee_overflow 0
		.amdhsa_exception_fp_ieee_underflow 0
		.amdhsa_exception_fp_ieee_inexact 0
		.amdhsa_exception_int_div_zero 0
	.end_amdhsa_kernel
	.text
.Lfunc_end0:
	.size	bluestein_single_fwd_len648_dim1_sp_op_CI_CI, .Lfunc_end0-bluestein_single_fwd_len648_dim1_sp_op_CI_CI
                                        ; -- End function
	.section	.AMDGPU.csdata,"",@progbits
; Kernel info:
; codeLenInByte = 4812
; NumSgprs: 22
; NumVgprs: 74
; NumAgprs: 0
; TotalNumVgprs: 74
; ScratchSize: 0
; MemoryBound: 0
; FloatMode: 240
; IeeeMode: 1
; LDSByteSize: 5184 bytes/workgroup (compile time only)
; SGPRBlocks: 2
; VGPRBlocks: 9
; NumSGPRsForWavesPerEU: 22
; NumVGPRsForWavesPerEU: 74
; AccumOffset: 76
; Occupancy: 6
; WaveLimiterHint : 1
; COMPUTE_PGM_RSRC2:SCRATCH_EN: 0
; COMPUTE_PGM_RSRC2:USER_SGPR: 2
; COMPUTE_PGM_RSRC2:TRAP_HANDLER: 0
; COMPUTE_PGM_RSRC2:TGID_X_EN: 1
; COMPUTE_PGM_RSRC2:TGID_Y_EN: 0
; COMPUTE_PGM_RSRC2:TGID_Z_EN: 0
; COMPUTE_PGM_RSRC2:TIDIG_COMP_CNT: 0
; COMPUTE_PGM_RSRC3_GFX90A:ACCUM_OFFSET: 18
; COMPUTE_PGM_RSRC3_GFX90A:TG_SPLIT: 0
	.text
	.p2alignl 6, 3212836864
	.fill 256, 4, 3212836864
	.type	__hip_cuid_e129e0de5f348c52,@object ; @__hip_cuid_e129e0de5f348c52
	.section	.bss,"aw",@nobits
	.globl	__hip_cuid_e129e0de5f348c52
__hip_cuid_e129e0de5f348c52:
	.byte	0                               ; 0x0
	.size	__hip_cuid_e129e0de5f348c52, 1

	.ident	"AMD clang version 19.0.0git (https://github.com/RadeonOpenCompute/llvm-project roc-6.4.0 25133 c7fe45cf4b819c5991fe208aaa96edf142730f1d)"
	.section	".note.GNU-stack","",@progbits
	.addrsig
	.addrsig_sym __hip_cuid_e129e0de5f348c52
	.amdgpu_metadata
---
amdhsa.kernels:
  - .agpr_count:     0
    .args:
      - .actual_access:  read_only
        .address_space:  global
        .offset:         0
        .size:           8
        .value_kind:     global_buffer
      - .actual_access:  read_only
        .address_space:  global
        .offset:         8
        .size:           8
        .value_kind:     global_buffer
      - .actual_access:  read_only
        .address_space:  global
        .offset:         16
        .size:           8
        .value_kind:     global_buffer
      - .actual_access:  read_only
        .address_space:  global
        .offset:         24
        .size:           8
        .value_kind:     global_buffer
      - .actual_access:  read_only
        .address_space:  global
        .offset:         32
        .size:           8
        .value_kind:     global_buffer
      - .offset:         40
        .size:           8
        .value_kind:     by_value
      - .address_space:  global
        .offset:         48
        .size:           8
        .value_kind:     global_buffer
      - .address_space:  global
        .offset:         56
        .size:           8
        .value_kind:     global_buffer
      - .address_space:  global
        .offset:         64
        .size:           8
        .value_kind:     global_buffer
      - .address_space:  global
        .offset:         72
        .size:           8
        .value_kind:     global_buffer
      - .offset:         80
        .size:           4
        .value_kind:     by_value
      - .address_space:  global
        .offset:         88
        .size:           8
        .value_kind:     global_buffer
      - .address_space:  global
        .offset:         96
        .size:           8
        .value_kind:     global_buffer
    .group_segment_fixed_size: 5184
    .kernarg_segment_align: 8
    .kernarg_segment_size: 104
    .language:       OpenCL C
    .language_version:
      - 2
      - 0
    .max_flat_workgroup_size: 216
    .name:           bluestein_single_fwd_len648_dim1_sp_op_CI_CI
    .private_segment_fixed_size: 0
    .sgpr_count:     22
    .sgpr_spill_count: 0
    .symbol:         bluestein_single_fwd_len648_dim1_sp_op_CI_CI.kd
    .uniform_work_group_size: 1
    .uses_dynamic_stack: false
    .vgpr_count:     74
    .vgpr_spill_count: 0
    .wavefront_size: 64
amdhsa.target:   amdgcn-amd-amdhsa--gfx950
amdhsa.version:
  - 1
  - 2
...

	.end_amdgpu_metadata
